;; amdgpu-corpus repo=ROCm/rocFFT kind=compiled arch=gfx950 opt=O3
	.text
	.amdgcn_target "amdgcn-amd-amdhsa--gfx950"
	.amdhsa_code_object_version 6
	.protected	fft_rtc_back_len343_factors_7_7_7_wgs_245_tpt_49_sp_ip_CI_sbcc_twdbase5_3step_dirReg_intrinsicRead ; -- Begin function fft_rtc_back_len343_factors_7_7_7_wgs_245_tpt_49_sp_ip_CI_sbcc_twdbase5_3step_dirReg_intrinsicRead
	.globl	fft_rtc_back_len343_factors_7_7_7_wgs_245_tpt_49_sp_ip_CI_sbcc_twdbase5_3step_dirReg_intrinsicRead
	.p2align	8
	.type	fft_rtc_back_len343_factors_7_7_7_wgs_245_tpt_49_sp_ip_CI_sbcc_twdbase5_3step_dirReg_intrinsicRead,@function
fft_rtc_back_len343_factors_7_7_7_wgs_245_tpt_49_sp_ip_CI_sbcc_twdbase5_3step_dirReg_intrinsicRead: ; @fft_rtc_back_len343_factors_7_7_7_wgs_245_tpt_49_sp_ip_CI_sbcc_twdbase5_3step_dirReg_intrinsicRead
; %bb.0:
	s_load_dwordx8 s[4:11], s[0:1], 0x8
	s_movk_i32 s3, 0x60
	v_cmp_gt_u32_e32 vcc, s3, v0
	s_and_saveexec_b64 s[12:13], vcc
	s_cbranch_execz .LBB0_2
; %bb.1:
	v_lshlrev_b32_e32 v1, 3, v0
	s_waitcnt lgkmcnt(0)
	global_load_dwordx2 v[2:3], v1, s[4:5]
	v_add_u32_e32 v1, 0, v1
	s_waitcnt vmcnt(0)
	ds_write_b64 v1, v[2:3] offset:13720
.LBB0_2:
	s_or_b64 exec, exec, s[12:13]
	s_waitcnt lgkmcnt(0)
	s_load_dwordx2 s[18:19], s[8:9], 0x8
	s_mov_b32 s3, 0
	s_mov_b64 s[24:25], 0
	s_waitcnt lgkmcnt(0)
	s_add_u32 s4, s18, -1
	s_addc_u32 s5, s19, -1
	s_add_u32 s12, 0, 0x3330c000
	s_addc_u32 s13, 0, 0xb3
	s_mul_hi_u32 s15, s12, -5
	s_add_i32 s13, s13, 0x33333280
	s_sub_i32 s15, s15, s12
	s_mul_i32 s20, s13, -5
	s_mul_i32 s14, s12, -5
	s_add_i32 s15, s15, s20
	s_mul_hi_u32 s16, s13, s14
	s_mul_i32 s17, s13, s14
	s_mul_i32 s21, s12, s15
	s_mul_hi_u32 s14, s12, s14
	s_mul_hi_u32 s20, s12, s15
	s_add_u32 s14, s14, s21
	s_addc_u32 s20, 0, s20
	s_add_u32 s14, s14, s17
	s_mul_hi_u32 s21, s13, s15
	s_addc_u32 s14, s20, s16
	s_addc_u32 s16, s21, 0
	s_mul_i32 s15, s13, s15
	s_add_u32 s14, s14, s15
	v_mov_b32_e32 v1, s14
	s_addc_u32 s15, 0, s16
	v_add_co_u32_e32 v1, vcc, s12, v1
	s_cmp_lg_u64 vcc, 0
	s_addc_u32 s12, s13, s15
	v_readfirstlane_b32 s15, v1
	s_mul_i32 s14, s4, s12
	s_mul_hi_u32 s16, s4, s15
	s_mul_hi_u32 s13, s4, s12
	s_add_u32 s14, s16, s14
	s_addc_u32 s13, 0, s13
	s_mul_hi_u32 s17, s5, s15
	s_mul_i32 s15, s5, s15
	s_add_u32 s14, s14, s15
	s_mul_hi_u32 s16, s5, s12
	s_addc_u32 s13, s13, s17
	s_addc_u32 s14, s16, 0
	s_mul_i32 s12, s5, s12
	s_add_u32 s12, s13, s12
	s_addc_u32 s13, 0, s14
	s_add_u32 s14, s12, 1
	s_addc_u32 s15, s13, 0
	s_add_u32 s16, s12, 2
	s_mul_i32 s20, s13, 5
	s_mul_hi_u32 s21, s12, 5
	s_addc_u32 s17, s13, 0
	s_add_i32 s21, s21, s20
	s_mul_i32 s20, s12, 5
	v_mov_b32_e32 v1, s20
	v_sub_co_u32_e32 v1, vcc, s4, v1
	s_cmp_lg_u64 vcc, 0
	s_subb_u32 s4, s5, s21
	v_subrev_co_u32_e32 v2, vcc, 5, v1
	s_cmp_lg_u64 vcc, 0
	s_subb_u32 s5, s4, 0
	v_readfirstlane_b32 s20, v2
	s_cmp_gt_u32 s20, 4
	s_cselect_b32 s20, -1, 0
	s_cmp_eq_u32 s5, 0
	s_cselect_b32 s5, s20, -1
	s_cmp_lg_u32 s5, 0
	s_cselect_b32 s5, s16, s14
	s_cselect_b32 s14, s17, s15
	v_readfirstlane_b32 s15, v1
	s_cmp_gt_u32 s15, 4
	s_cselect_b32 s15, -1, 0
	s_cmp_eq_u32 s4, 0
	s_cselect_b32 s4, s15, -1
	s_cmp_lg_u32 s4, 0
	s_cselect_b32 s5, s5, s12
	s_cselect_b32 s4, s14, s13
	s_add_u32 s20, s5, 1
	s_addc_u32 s21, s4, 0
	v_mov_b64_e32 v[2:3], s[20:21]
	v_cmp_lt_u64_e32 vcc, s[2:3], v[2:3]
	s_cbranch_vccnz .LBB0_4
; %bb.3:
	v_cvt_f32_u32_e32 v1, s20
	s_sub_i32 s4, 0, s20
	s_mov_b32 s25, s3
	v_rcp_iflag_f32_e32 v1, v1
	s_nop 0
	v_mul_f32_e32 v1, 0x4f7ffffe, v1
	v_cvt_u32_f32_e32 v1, v1
	s_nop 0
	v_readfirstlane_b32 s5, v1
	s_mul_i32 s4, s4, s5
	s_mul_hi_u32 s4, s5, s4
	s_add_i32 s5, s5, s4
	s_mul_hi_u32 s4, s2, s5
	s_mul_i32 s12, s4, s20
	s_sub_i32 s12, s2, s12
	s_add_i32 s5, s4, 1
	s_sub_i32 s13, s12, s20
	s_cmp_ge_u32 s12, s20
	s_cselect_b32 s4, s5, s4
	s_cselect_b32 s12, s13, s12
	s_add_i32 s5, s4, 1
	s_cmp_ge_u32 s12, s20
	s_cselect_b32 s24, s5, s4
.LBB0_4:
	s_load_dwordx2 s[4:5], s[0:1], 0x58
	s_load_dwordx2 s[16:17], s[0:1], 0x0
	s_load_dwordx4 s[12:15], s[10:11], 0x0
	s_mul_i32 s0, s24, s21
	s_mul_hi_u32 s1, s24, s20
	s_add_i32 s1, s1, s0
	s_mul_i32 s0, s24, s20
	s_sub_u32 s0, s2, s0
	s_subb_u32 s1, 0, s1
	s_mul_i32 s1, s1, 5
	s_mul_hi_u32 s22, s0, 5
	s_add_i32 s23, s22, s1
	s_mul_i32 s22, s0, 5
	s_waitcnt lgkmcnt(0)
	s_mul_i32 s0, s14, s23
	s_mul_hi_u32 s1, s14, s22
	s_add_i32 s0, s1, s0
	s_mul_i32 s1, s15, s22
	s_add_i32 s33, s0, s1
	v_cmp_lt_u64_e64 s[0:1], s[6:7], 3
	s_mul_i32 s38, s14, s22
	s_and_b64 vcc, exec, s[0:1]
	s_cbranch_vccnz .LBB0_14
; %bb.5:
	s_add_u32 s26, s10, 16
	s_addc_u32 s27, s11, 0
	s_add_u32 s8, s8, 16
	s_addc_u32 s9, s9, 0
	s_mov_b64 s[28:29], 2
	s_mov_b32 s30, 0
	v_mov_b64_e32 v[2:3], s[6:7]
.LBB0_6:                                ; =>This Inner Loop Header: Depth=1
	s_load_dwordx2 s[34:35], s[8:9], 0x0
	s_waitcnt lgkmcnt(0)
	s_or_b64 s[0:1], s[24:25], s[34:35]
	s_mov_b32 s31, s1
	s_cmp_lg_u64 s[30:31], 0
	s_cbranch_scc0 .LBB0_11
; %bb.7:                                ;   in Loop: Header=BB0_6 Depth=1
	v_cvt_f32_u32_e32 v1, s34
	v_cvt_f32_u32_e32 v4, s35
	s_sub_u32 s0, 0, s34
	s_subb_u32 s1, 0, s35
	v_fmac_f32_e32 v1, 0x4f800000, v4
	v_rcp_f32_e32 v1, v1
	s_nop 0
	v_mul_f32_e32 v1, 0x5f7ffffc, v1
	v_mul_f32_e32 v4, 0x2f800000, v1
	v_trunc_f32_e32 v4, v4
	v_fmac_f32_e32 v1, 0xcf800000, v4
	v_cvt_u32_f32_e32 v4, v4
	v_cvt_u32_f32_e32 v1, v1
	v_readfirstlane_b32 s31, v4
	v_readfirstlane_b32 s36, v1
	s_mul_i32 s37, s0, s31
	s_mul_hi_u32 s40, s0, s36
	s_mul_i32 s39, s1, s36
	s_add_i32 s37, s40, s37
	s_mul_i32 s41, s0, s36
	s_add_i32 s37, s37, s39
	s_mul_hi_u32 s39, s36, s37
	s_mul_i32 s40, s36, s37
	s_mul_hi_u32 s36, s36, s41
	s_add_u32 s36, s36, s40
	s_addc_u32 s39, 0, s39
	s_mul_hi_u32 s42, s31, s41
	s_mul_i32 s41, s31, s41
	s_add_u32 s36, s36, s41
	s_mul_hi_u32 s40, s31, s37
	s_addc_u32 s36, s39, s42
	s_addc_u32 s39, s40, 0
	s_mul_i32 s37, s31, s37
	s_add_u32 s36, s36, s37
	s_addc_u32 s37, 0, s39
	v_add_co_u32_e32 v1, vcc, s36, v1
	s_cmp_lg_u64 vcc, 0
	s_addc_u32 s31, s31, s37
	v_readfirstlane_b32 s37, v1
	s_mul_i32 s36, s0, s31
	s_mul_hi_u32 s39, s0, s37
	s_add_i32 s36, s39, s36
	s_mul_i32 s1, s1, s37
	s_add_i32 s36, s36, s1
	s_mul_i32 s0, s0, s37
	s_mul_hi_u32 s39, s31, s0
	s_mul_i32 s40, s31, s0
	s_mul_i32 s42, s37, s36
	s_mul_hi_u32 s0, s37, s0
	s_mul_hi_u32 s41, s37, s36
	s_add_u32 s0, s0, s42
	s_addc_u32 s37, 0, s41
	s_add_u32 s0, s0, s40
	s_mul_hi_u32 s1, s31, s36
	s_addc_u32 s0, s37, s39
	s_addc_u32 s1, s1, 0
	s_mul_i32 s36, s31, s36
	s_add_u32 s0, s0, s36
	s_addc_u32 s1, 0, s1
	v_add_co_u32_e32 v1, vcc, s0, v1
	s_cmp_lg_u64 vcc, 0
	s_addc_u32 s0, s31, s1
	v_readfirstlane_b32 s36, v1
	s_mul_i32 s31, s24, s0
	s_mul_hi_u32 s37, s24, s36
	s_mul_hi_u32 s1, s24, s0
	s_add_u32 s31, s37, s31
	s_addc_u32 s1, 0, s1
	s_mul_hi_u32 s39, s25, s36
	s_mul_i32 s36, s25, s36
	s_add_u32 s31, s31, s36
	s_mul_hi_u32 s37, s25, s0
	s_addc_u32 s1, s1, s39
	s_addc_u32 s31, s37, 0
	s_mul_i32 s0, s25, s0
	s_add_u32 s36, s1, s0
	s_addc_u32 s31, 0, s31
	s_mul_i32 s0, s34, s31
	s_mul_hi_u32 s1, s34, s36
	s_add_i32 s0, s1, s0
	s_mul_i32 s1, s35, s36
	s_add_i32 s37, s0, s1
	s_mul_i32 s1, s34, s36
	v_mov_b32_e32 v1, s1
	s_sub_i32 s0, s25, s37
	v_sub_co_u32_e32 v1, vcc, s24, v1
	s_cmp_lg_u64 vcc, 0
	s_subb_u32 s39, s0, s35
	v_subrev_co_u32_e64 v4, s[0:1], s34, v1
	s_cmp_lg_u64 s[0:1], 0
	s_subb_u32 s0, s39, 0
	s_cmp_ge_u32 s0, s35
	v_readfirstlane_b32 s39, v4
	s_cselect_b32 s1, -1, 0
	s_cmp_ge_u32 s39, s34
	s_cselect_b32 s39, -1, 0
	s_cmp_eq_u32 s0, s35
	s_cselect_b32 s0, s39, s1
	s_add_u32 s1, s36, 1
	s_addc_u32 s39, s31, 0
	s_add_u32 s40, s36, 2
	s_addc_u32 s41, s31, 0
	s_cmp_lg_u32 s0, 0
	s_cselect_b32 s0, s40, s1
	s_cselect_b32 s1, s41, s39
	s_cmp_lg_u64 vcc, 0
	s_subb_u32 s37, s25, s37
	s_cmp_ge_u32 s37, s35
	v_readfirstlane_b32 s40, v1
	s_cselect_b32 s39, -1, 0
	s_cmp_ge_u32 s40, s34
	s_cselect_b32 s40, -1, 0
	s_cmp_eq_u32 s37, s35
	s_cselect_b32 s37, s40, s39
	s_cmp_lg_u32 s37, 0
	s_cselect_b32 s1, s1, s31
	s_cselect_b32 s0, s0, s36
	s_cbranch_execnz .LBB0_9
.LBB0_8:                                ;   in Loop: Header=BB0_6 Depth=1
	v_cvt_f32_u32_e32 v1, s34
	s_sub_i32 s0, 0, s34
	v_rcp_iflag_f32_e32 v1, v1
	s_nop 0
	v_mul_f32_e32 v1, 0x4f7ffffe, v1
	v_cvt_u32_f32_e32 v1, v1
	s_nop 0
	v_readfirstlane_b32 s1, v1
	s_mul_i32 s0, s0, s1
	s_mul_hi_u32 s0, s1, s0
	s_add_i32 s1, s1, s0
	s_mul_hi_u32 s0, s24, s1
	s_mul_i32 s31, s0, s34
	s_sub_i32 s31, s24, s31
	s_add_i32 s1, s0, 1
	s_sub_i32 s36, s31, s34
	s_cmp_ge_u32 s31, s34
	s_cselect_b32 s0, s1, s0
	s_cselect_b32 s31, s36, s31
	s_add_i32 s1, s0, 1
	s_cmp_ge_u32 s31, s34
	s_cselect_b32 s0, s1, s0
	s_mov_b32 s1, s30
.LBB0_9:                                ;   in Loop: Header=BB0_6 Depth=1
	s_mul_i32 s21, s34, s21
	s_mul_hi_u32 s31, s34, s20
	s_add_i32 s21, s31, s21
	s_mul_i32 s31, s35, s20
	s_add_i32 s21, s21, s31
	s_mul_i32 s31, s0, s35
	s_mul_hi_u32 s35, s0, s34
	s_load_dwordx2 s[36:37], s[26:27], 0x0
	s_add_i32 s31, s35, s31
	s_mul_i32 s35, s1, s34
	s_mul_i32 s20, s34, s20
	s_add_i32 s31, s31, s35
	s_mul_i32 s34, s0, s34
	s_sub_u32 s24, s24, s34
	s_subb_u32 s25, s25, s31
	s_waitcnt lgkmcnt(0)
	s_mul_i32 s25, s36, s25
	s_mul_hi_u32 s31, s36, s24
	s_add_i32 s25, s31, s25
	s_mul_i32 s31, s37, s24
	s_add_i32 s25, s25, s31
	s_mul_i32 s24, s36, s24
	s_add_u32 s38, s24, s38
	s_addc_u32 s33, s25, s33
	s_add_u32 s28, s28, 1
	s_addc_u32 s29, s29, 0
	;; [unrolled: 2-line block ×3, first 2 shown]
	s_add_u32 s8, s8, 8
	v_cmp_ge_u64_e32 vcc, s[28:29], v[2:3]
	s_addc_u32 s9, s9, 0
	s_cbranch_vccnz .LBB0_12
; %bb.10:                               ;   in Loop: Header=BB0_6 Depth=1
	s_mov_b64 s[24:25], s[0:1]
	s_branch .LBB0_6
.LBB0_11:                               ;   in Loop: Header=BB0_6 Depth=1
                                        ; implicit-def: $sgpr0_sgpr1
	s_branch .LBB0_8
.LBB0_12:
	v_mov_b64_e32 v[2:3], s[20:21]
	v_cmp_lt_u64_e32 vcc, s[2:3], v[2:3]
	s_mov_b64 s[24:25], 0
	s_cbranch_vccnz .LBB0_14
; %bb.13:
	v_cvt_f32_u32_e32 v1, s20
	s_sub_i32 s0, 0, s20
	v_rcp_iflag_f32_e32 v1, v1
	s_nop 0
	v_mul_f32_e32 v1, 0x4f7ffffe, v1
	v_cvt_u32_f32_e32 v1, v1
	s_nop 0
	v_readfirstlane_b32 s1, v1
	s_mul_i32 s0, s0, s1
	s_mul_hi_u32 s0, s1, s0
	s_add_i32 s1, s1, s0
	s_mul_hi_u32 s0, s2, s1
	s_mul_i32 s3, s0, s20
	s_sub_i32 s2, s2, s3
	s_add_i32 s1, s0, 1
	s_sub_i32 s3, s2, s20
	s_cmp_ge_u32 s2, s20
	s_cselect_b32 s0, s1, s0
	s_cselect_b32 s2, s3, s2
	s_add_i32 s1, s0, 1
	s_cmp_ge_u32 s2, s20
	s_cselect_b32 s24, s1, s0
.LBB0_14:
	s_lshl_b64 s[0:1], s[6:7], 3
	s_add_u32 s0, s10, s0
	s_addc_u32 s1, s11, s1
	s_load_dwordx2 s[0:1], s[0:1], 0x0
	s_mov_b32 s2, 0x33333334
	v_mul_hi_u32 v1, v0, s2
	v_mul_u32_u24_e32 v2, 5, v1
	v_sub_u32_e32 v4, v0, v2
	s_waitcnt lgkmcnt(0)
	s_mul_i32 s1, s1, s24
	s_mul_hi_u32 s2, s0, s24
	s_mul_i32 s0, s0, s24
	s_add_i32 s1, s2, s1
	s_add_u32 s2, s0, s38
	s_addc_u32 s3, s1, s33
	s_add_u32 s0, s22, 5
	s_addc_u32 s1, s23, 0
	v_mov_b64_e32 v[2:3], s[18:19]
	v_mov_b32_e32 v6, 0
	v_cmp_le_u64_e32 vcc, s[0:1], v[2:3]
	v_mad_u64_u32 v[26:27], s[0:1], s14, v4, 0
	v_mov_b32_e32 v5, v6
	v_mov_b32_e32 v2, v27
	v_lshl_add_u64 v[28:29], s[22:23], 0, v[4:5]
	v_mad_u64_u32 v[2:3], s[0:1], s15, v4, v[2:3]
	v_cmp_gt_u64_e64 s[0:1], s[18:19], v[28:29]
	v_mov_b32_e32 v27, v2
	s_or_b64 s[22:23], vcc, s[0:1]
	v_mov_b32_e32 v2, 0
	v_mov_b32_e32 v3, 0
	s_and_saveexec_b64 s[0:1], s[22:23]
	s_cbranch_execz .LBB0_16
; %bb.15:
	v_mul_lo_u32 v2, s12, v1
	v_add3_u32 v2, s2, v26, v2
	v_mov_b32_e32 v3, v6
	v_lshl_add_u64 v[2:3], v[2:3], 3, s[4:5]
	global_load_dwordx2 v[2:3], v[2:3], off
.LBB0_16:
	s_or_b64 exec, exec, s[0:1]
	v_mov_b32_e32 v7, 0
	s_and_saveexec_b64 s[0:1], s[22:23]
	s_cbranch_execz .LBB0_18
; %bb.17:
	v_add_u32_e32 v5, 49, v1
	v_mul_lo_u32 v5, s12, v5
	v_add3_u32 v6, s2, v26, v5
	v_mov_b32_e32 v7, 0
	v_lshl_add_u64 v[6:7], v[6:7], 3, s[4:5]
	global_load_dwordx2 v[6:7], v[6:7], off
.LBB0_18:
	s_or_b64 exec, exec, s[0:1]
	v_mov_b32_e32 v8, 0
	v_mov_b32_e32 v10, 0
	;; [unrolled: 1-line block ×3, first 2 shown]
	s_and_saveexec_b64 s[0:1], s[22:23]
	s_cbranch_execz .LBB0_20
; %bb.19:
	v_add_u32_e32 v5, 0x62, v1
	v_mul_lo_u32 v5, s12, v5
	v_add3_u32 v10, s2, v26, v5
	v_mov_b32_e32 v11, 0
	v_lshl_add_u64 v[10:11], v[10:11], 3, s[4:5]
	global_load_dwordx2 v[10:11], v[10:11], off
.LBB0_20:
	s_or_b64 exec, exec, s[0:1]
	v_mov_b32_e32 v9, 0
	s_and_saveexec_b64 s[0:1], s[22:23]
	s_cbranch_execz .LBB0_22
; %bb.21:
	v_add_u32_e32 v5, 0x93, v1
	v_mul_lo_u32 v5, s12, v5
	v_add3_u32 v8, s2, v26, v5
	v_mov_b32_e32 v9, 0
	v_lshl_add_u64 v[8:9], v[8:9], 3, s[4:5]
	global_load_dwordx2 v[8:9], v[8:9], off
.LBB0_22:
	s_or_b64 exec, exec, s[0:1]
	v_mov_b32_e32 v14, 0
	v_mov_b32_e32 v12, 0
	;; [unrolled: 1-line block ×3, first 2 shown]
	s_and_saveexec_b64 s[0:1], s[22:23]
	s_cbranch_execz .LBB0_24
; %bb.23:
	v_add_u32_e32 v5, 0xc4, v1
	v_mul_lo_u32 v5, s12, v5
	v_add3_u32 v12, s2, v26, v5
	v_mov_b32_e32 v13, 0
	v_lshl_add_u64 v[12:13], v[12:13], 3, s[4:5]
	global_load_dwordx2 v[12:13], v[12:13], off
.LBB0_24:
	s_or_b64 exec, exec, s[0:1]
	v_mov_b32_e32 v15, 0
	s_and_saveexec_b64 s[0:1], s[22:23]
	s_cbranch_execz .LBB0_26
; %bb.25:
	v_add_u32_e32 v5, 0xf5, v1
	v_mul_lo_u32 v5, s12, v5
	v_add3_u32 v14, s2, v26, v5
	v_mov_b32_e32 v15, 0
	v_lshl_add_u64 v[14:15], v[14:15], 3, s[4:5]
	global_load_dwordx2 v[14:15], v[14:15], off
.LBB0_26:
	s_or_b64 exec, exec, s[0:1]
	v_mov_b32_e32 v16, 0
	v_mov_b32_e32 v17, 0
	s_and_saveexec_b64 s[0:1], s[22:23]
	s_cbranch_execz .LBB0_28
; %bb.27:
	v_add_u32_e32 v5, 0x126, v1
	v_mul_lo_u32 v5, s12, v5
	v_add3_u32 v16, s2, v26, v5
	v_mov_b32_e32 v17, 0
	v_lshl_add_u64 v[16:17], v[16:17], 3, s[4:5]
	global_load_dwordx2 v[16:17], v[16:17], off
.LBB0_28:
	s_or_b64 exec, exec, s[0:1]
	s_waitcnt vmcnt(0)
	v_mov_b32_e32 v18, v6
	v_mov_b32_e32 v19, v9
	;; [unrolled: 1-line block ×8, first 2 shown]
	v_pk_add_f32 v[18:19], v[18:19], v[20:21]
	v_pk_add_f32 v[20:21], v[6:7], v[16:17]
	v_pk_add_f32 v[6:7], v[6:7], v[16:17] neg_lo:[0,1] neg_hi:[0,1]
	v_pk_add_f32 v[16:17], v[10:11], v[14:15]
	v_pk_add_f32 v[22:23], v[22:23], v[24:25]
	v_pk_add_f32 v[10:11], v[10:11], v[14:15] neg_lo:[0,1] neg_hi:[0,1]
	v_pk_add_f32 v[8:9], v[12:13], v[8:9] neg_lo:[0,1] neg_hi:[0,1]
	v_mul_u32_u24_e32 v5, 0x118, v1
	v_lshlrev_b32_e32 v35, 3, v4
	v_mov_b32_e32 v17, v23
	v_mov_b32_e32 v20, v18
	;; [unrolled: 1-line block ×6, first 2 shown]
	s_mov_b32 s14, 0xbeae86e6
	v_add3_u32 v29, 0, v5, v35
	v_pk_add_f32 v[4:5], v[16:17], v[20:21]
	v_pk_add_f32 v[12:13], v[12:13], v[14:15] neg_lo:[0,1] neg_hi:[0,1]
	v_pk_add_f32 v[14:15], v[18:19], v[22:23] neg_lo:[0,1] neg_hi:[0,1]
	v_mov_b32_e32 v30, v9
	v_mov_b32_e32 v31, v6
	;; [unrolled: 1-line block ×5, first 2 shown]
	s_mov_b32 s20, 0x3d64c772
	s_mov_b32 s15, 0x3f08b237
	v_pk_add_f32 v[24:25], v[8:9], v[10:11]
	v_pk_add_f32 v[30:31], v[30:31], v[32:33] neg_lo:[0,1] neg_hi:[0,1]
	v_mov_b32_e32 v32, v7
	v_mov_b32_e32 v8, v9
	;; [unrolled: 1-line block ×3, first 2 shown]
	v_pk_add_f32 v[4:5], v[22:23], v[4:5]
	s_mov_b32 s21, 0x3f4a47b2
	s_mov_b32 s18, s15
	s_mov_b32 s19, s14
	v_pk_add_f32 v[8:9], v[32:33], v[8:9] neg_lo:[0,1] neg_hi:[0,1]
	v_pk_add_f32 v[18:19], v[24:25], v[6:7]
	v_pk_add_f32 v[2:3], v[2:3], v[4:5]
	s_mov_b32 s24, 0x3f955555
	v_pk_mul_f32 v[12:13], v[12:13], s[20:21]
	s_mov_b32 s10, s21
	s_mov_b32 s11, s20
	;; [unrolled: 1-line block ×3, first 2 shown]
	v_pk_mul_f32 v[30:31], v[30:31], s[18:19]
	v_pk_mul_f32 v[22:23], v[14:15], s[10:11]
	v_pk_mul_f32 v[24:25], v[18:19], s[0:1] op_sel_hi:[1,0]
	v_pk_mul_f32 v[32:33], v[8:9], s[14:15]
	v_pk_fma_f32 v[4:5], v[4:5], s[24:25], v[2:3] op_sel_hi:[1,0,1] neg_lo:[1,0,0] neg_hi:[1,0,0]
	v_pk_fma_f32 v[14:15], v[14:15], s[10:11], v[12:13]
	v_pk_fma_f32 v[8:9], v[8:9], s[14:15], v[30:31]
	v_pk_add_f32 v[14:15], v[14:15], v[4:5]
	v_pk_add_f32 v[8:9], v[24:25], v[8:9] op_sel:[1,0] op_sel_hi:[0,1]
	v_pk_add_f32 v[24:25], v[14:15], v[8:9]
	v_pk_add_f32 v[8:9], v[14:15], v[8:9] neg_lo:[0,1] neg_hi:[0,1]
	v_mov_b32_e32 v14, v24
	v_mov_b32_e32 v15, v9
	ds_write2_b64 v29, v[2:3], v[14:15] offset1:5
	v_pk_add_f32 v[2:3], v[16:17], v[20:21] neg_lo:[0,1] neg_hi:[0,1]
	v_pk_add_f32 v[6:7], v[10:11], v[6:7] neg_lo:[0,1] neg_hi:[0,1]
	s_mov_b32 s6, 0x3f3bfb3b
	v_mov_b32_e32 v10, v22
	v_mov_b32_e32 v11, v13
	;; [unrolled: 1-line block ×3, first 2 shown]
	s_mov_b32 s8, 0xbf5ff5aa
	v_pk_fma_f32 v[10:11], v[2:3], s[6:7], v[10:11] op_sel_hi:[1,0,1] neg_lo:[1,0,1] neg_hi:[1,0,1]
	v_mov_b32_e32 v14, v31
	v_mov_b32_e32 v15, v32
	v_pk_fma_f32 v[2:3], v[2:3], s[6:7], v[12:13] op_sel_hi:[1,0,1] neg_lo:[0,0,1] neg_hi:[0,0,1]
	v_mov_b32_e32 v12, v33
	v_mov_b32_e32 v13, v30
	v_pk_fma_f32 v[14:15], v[6:7], s[8:9], v[14:15] op_sel_hi:[1,0,1] neg_lo:[1,0,1] neg_hi:[1,0,1]
	v_pk_fma_f32 v[6:7], v[6:7], s[8:9], v[12:13] op_sel_hi:[1,0,1] neg_lo:[0,0,1] neg_hi:[0,0,1]
	v_pk_add_f32 v[10:11], v[10:11], v[4:5]
	v_pk_fma_f32 v[14:15], v[18:19], s[0:1], v[14:15] op_sel_hi:[1,0,1]
	v_pk_add_f32 v[2:3], v[2:3], v[4:5]
	v_pk_fma_f32 v[4:5], v[18:19], s[0:1], v[6:7] op_sel_hi:[1,0,1]
	v_pk_add_f32 v[16:17], v[10:11], v[14:15] op_sel:[0,1] op_sel_hi:[1,0]
	v_pk_add_f32 v[10:11], v[10:11], v[14:15] op_sel:[0,1] op_sel_hi:[1,0] neg_lo:[0,1] neg_hi:[0,1]
	v_pk_add_f32 v[6:7], v[2:3], v[4:5] op_sel:[0,1] op_sel_hi:[1,0] neg_lo:[0,1] neg_hi:[0,1]
	v_pk_add_f32 v[2:3], v[2:3], v[4:5] op_sel:[0,1] op_sel_hi:[1,0]
	v_mov_b32_e32 v15, v11
	v_mov_b32_e32 v5, v3
	;; [unrolled: 1-line block ×4, first 2 shown]
	s_mov_b32 s1, 0x24924925
	ds_write2_b64 v29, v[2:3], v[10:11] offset0:20 offset1:25
	v_mul_hi_u32 v2, v1, s1
	v_mul_u32_u24_e32 v2, 7, v2
	v_sub_u32_e32 v37, v1, v2
	v_mul_u32_u24_e32 v2, 6, v37
	v_mov_b32_e32 v14, v16
	v_mov_b32_e32 v4, v6
	v_mov_b32_e32 v9, v25
	v_lshlrev_b32_e32 v2, 3, v2
	ds_write2_b64 v29, v[14:15], v[4:5] offset0:10 offset1:15
	ds_write_b64 v29, v[8:9] offset:240
	s_waitcnt lgkmcnt(0)
	s_barrier
	global_load_dwordx4 v[4:7], v2, s[16:17] offset:16
	global_load_dwordx4 v[8:11], v2, s[16:17]
	global_load_dwordx4 v[12:15], v2, s[16:17] offset:32
	s_movk_i32 s1, 0xff10
	v_mad_i32_i24 v29, v1, s1, v29
	v_add_u32_e32 v2, 0xf00, v29
	ds_read2_b64 v[16:19], v2 offset0:10 offset1:255
	ds_read2_b64 v[20:23], v29 offset1:245
	v_add_u32_e32 v3, 0x1e80, v29
	ds_read2_b64 v[30:33], v3 offset0:4 offset1:249
	ds_read_b64 v[24:25], v29 offset:11760
	s_mov_b32 s1, 0x7507508
	s_waitcnt lgkmcnt(0)
	s_barrier
	s_waitcnt vmcnt(2)
	v_mul_f32_e32 v36, v5, v19
	v_mul_f32_e32 v5, v5, v18
	;; [unrolled: 1-line block ×3, first 2 shown]
	v_fma_f32 v4, v4, v19, -v5
	v_mul_f32_e32 v18, v6, v30
	v_mul_f32_e32 v5, v7, v30
	v_mov_b32_e32 v30, v23
	s_waitcnt vmcnt(1)
	v_pk_mul_f32 v[40:41], v[8:9], v[22:23] op_sel_hi:[1,0]
	v_mul_f32_e32 v38, v7, v31
	v_fma_f32 v6, v6, v31, -v5
	v_pk_fma_f32 v[30:31], v[8:9], v[30:31], v[40:41] op_sel:[0,0,1] op_sel_hi:[1,1,0] neg_lo:[0,0,1] neg_hi:[0,0,1]
	v_pk_fma_f32 v[8:9], v[8:9], v[22:23], v[40:41] op_sel:[0,1,1] op_sel_hi:[1,1,0]
	v_pk_mul_f32 v[22:23], v[10:11], v[16:17] op_sel_hi:[1,0]
	v_mov_b32_e32 v8, v17
	v_mov_b32_e32 v31, v9
	v_pk_fma_f32 v[8:9], v[10:11], v[8:9], v[22:23] op_sel:[0,0,1] op_sel_hi:[1,1,0] neg_lo:[0,0,1] neg_hi:[0,0,1]
	v_pk_fma_f32 v[10:11], v[10:11], v[16:17], v[22:23] op_sel:[0,1,1] op_sel_hi:[1,1,0]
	s_waitcnt vmcnt(0)
	v_pk_mul_f32 v[16:17], v[12:13], v[32:33] op_sel_hi:[1,0]
	v_mov_b32_e32 v10, v33
	v_mul_hi_u32 v5, v0, s1
	v_mov_b32_e32 v9, v11
	v_pk_fma_f32 v[10:11], v[12:13], v[10:11], v[16:17] op_sel:[0,0,1] op_sel_hi:[1,1,0] neg_lo:[0,0,1] neg_hi:[0,0,1]
	v_pk_fma_f32 v[12:13], v[12:13], v[32:33], v[16:17] op_sel:[0,1,1] op_sel_hi:[1,1,0]
	v_mad_u32_u24 v5, v5, 49, v37
	v_mov_b32_e32 v12, v25
	v_pk_mul_f32 v[16:17], v[14:15], v[24:25] op_sel_hi:[1,0]
	v_mul_i32_i24_e32 v5, 40, v5
	v_mov_b32_e32 v11, v13
	v_pk_fma_f32 v[12:13], v[14:15], v[12:13], v[16:17] op_sel:[0,0,1] op_sel_hi:[1,1,0] neg_lo:[0,0,1] neg_hi:[0,0,1]
	v_pk_fma_f32 v[14:15], v[14:15], v[24:25], v[16:17] op_sel:[0,1,1] op_sel_hi:[1,1,0]
	v_add3_u32 v42, 0, v5, v35
	v_mov_b32_e32 v13, v15
	v_mov_b32_e32 v19, v30
	;; [unrolled: 1-line block ×5, first 2 shown]
	v_pk_add_f32 v[14:15], v[30:31], v[12:13]
	v_pk_add_f32 v[16:17], v[30:31], v[12:13] neg_lo:[0,1] neg_hi:[0,1]
	v_pk_add_f32 v[22:23], v[8:9], v[10:11]
	v_pk_add_f32 v[24:25], v[8:9], v[10:11] neg_lo:[0,1] neg_hi:[0,1]
	v_pk_add_f32 v[12:13], v[18:19], v[38:39]
	v_pk_add_f32 v[8:9], v[34:35], v[36:37]
	v_mov_b32_e32 v7, v12
	v_mov_b32_e32 v5, v8
	v_pk_add_f32 v[10:11], v[6:7], v[4:5] neg_lo:[0,1] neg_hi:[0,1]
	v_mov_b32_e32 v34, v23
	v_mov_b32_e32 v35, v4
	;; [unrolled: 1-line block ×4, first 2 shown]
	v_pk_add_f32 v[4:5], v[34:35], v[4:5]
	v_pk_add_f32 v[6:7], v[8:9], v[12:13]
	v_mov_b32_e32 v18, v10
	v_mov_b32_e32 v19, v17
	;; [unrolled: 1-line block ×6, first 2 shown]
	v_pk_add_f32 v[18:19], v[18:19], v[30:31] neg_lo:[0,1] neg_hi:[0,1]
	v_mov_b32_e32 v30, v16
	v_mov_b32_e32 v32, v10
	;; [unrolled: 1-line block ×3, first 2 shown]
	v_pk_add_f32 v[34:35], v[12:13], v[34:35] neg_lo:[0,1] neg_hi:[0,1]
	v_mov_b32_e32 v36, v15
	v_mov_b32_e32 v37, v5
	;; [unrolled: 1-line block ×3, first 2 shown]
	v_pk_add_f32 v[4:5], v[4:5], v[6:7]
	v_pk_mul_f32 v[18:19], v[18:19], s[18:19]
	v_pk_add_f32 v[30:31], v[30:31], v[32:33] neg_lo:[0,1] neg_hi:[0,1]
	v_pk_add_f32 v[10:11], v[10:11], v[24:25]
	v_pk_add_f32 v[36:37], v[36:37], v[8:9] neg_lo:[0,1] neg_hi:[0,1]
	v_pk_add_f32 v[6:7], v[4:5], v[20:21]
	v_pk_mul_f32 v[20:21], v[34:35], s[20:21]
	v_pk_mul_f32 v[32:33], v[30:31], s[14:15]
	v_pk_add_f32 v[10:11], v[10:11], v[16:17]
	v_pk_mul_f32 v[34:35], v[36:37], s[10:11]
	v_pk_fma_f32 v[4:5], v[4:5], s[24:25], v[6:7] op_sel_hi:[1,0,1] neg_lo:[1,0,0] neg_hi:[1,0,0]
	v_pk_fma_f32 v[36:37], v[36:37], s[10:11], v[20:21]
	v_pk_fma_f32 v[30:31], v[30:31], s[14:15], v[18:19]
	v_pk_add_f32 v[36:37], v[36:37], v[4:5]
	v_pk_fma_f32 v[30:31], v[10:11], s[0:1], v[30:31] op_sel_hi:[1,0,1]
	v_mov_b32_e32 v8, v23
	v_pk_add_f32 v[38:39], v[36:37], v[30:31]
	v_pk_add_f32 v[30:31], v[36:37], v[30:31] neg_lo:[0,1] neg_hi:[0,1]
	v_mov_b32_e32 v36, v38
	v_mov_b32_e32 v37, v31
	;; [unrolled: 1-line block ×3, first 2 shown]
	ds_write2_b64 v42, v[6:7], v[36:37] offset1:35
	v_pk_add_f32 v[6:7], v[24:25], v[16:17] neg_lo:[0,1] neg_hi:[0,1]
	v_pk_add_f32 v[8:9], v[8:9], v[12:13] neg_lo:[0,1] neg_hi:[0,1]
	v_mov_b32_e32 v12, v34
	v_mov_b32_e32 v13, v21
	;; [unrolled: 1-line block ×6, first 2 shown]
	v_pk_fma_f32 v[12:13], v[8:9], s[6:7], v[12:13] op_sel_hi:[1,0,1] neg_lo:[1,0,1] neg_hi:[1,0,1]
	v_pk_fma_f32 v[14:15], v[6:7], s[8:9], v[14:15] op_sel_hi:[1,0,1] neg_lo:[1,0,1] neg_hi:[1,0,1]
	;; [unrolled: 1-line block ×4, first 2 shown]
	v_pk_add_f32 v[12:13], v[12:13], v[4:5]
	v_pk_fma_f32 v[14:15], v[10:11], s[0:1], v[14:15] op_sel_hi:[1,0,1]
	v_pk_add_f32 v[4:5], v[8:9], v[4:5]
	v_pk_fma_f32 v[6:7], v[10:11], s[0:1], v[6:7] op_sel_hi:[1,0,1]
	v_pk_add_f32 v[16:17], v[12:13], v[14:15]
	v_pk_add_f32 v[12:13], v[12:13], v[14:15] neg_lo:[0,1] neg_hi:[0,1]
	v_pk_add_f32 v[8:9], v[4:5], v[6:7] neg_lo:[0,1] neg_hi:[0,1]
	v_pk_add_f32 v[4:5], v[4:5], v[6:7]
	v_mov_b32_e32 v14, v16
	v_mov_b32_e32 v15, v13
	;; [unrolled: 1-line block ×7, first 2 shown]
	ds_write2_b64 v42, v[14:15], v[6:7] offset0:70 offset1:105
	ds_write2_b64 v42, v[4:5], v[12:13] offset0:140 offset1:175
	ds_write_b64 v42, v[30:31] offset:1680
	s_waitcnt lgkmcnt(0)
	s_barrier
	s_and_saveexec_b64 s[24:25], s[22:23]
	s_cbranch_execz .LBB0_30
; %bb.29:
	s_mov_b32 s1, 0x539782a
	v_mul_hi_u32 v4, v1, s1
	v_mul_u32_u24_e32 v4, 49, v4
	v_sub_u32_e32 v52, v1, v4
	v_mul_u32_u24_e32 v1, 6, v52
	v_lshlrev_b32_e32 v1, 3, v1
	global_load_dwordx4 v[18:21], v1, s[16:17] offset:368
	global_load_dwordx4 v[14:17], v1, s[16:17] offset:352
	;; [unrolled: 1-line block ×3, first 2 shown]
	v_add_u32_e32 v1, 0x126, v52
	s_movk_i32 s7, 0xffcf
	v_mul_lo_u32 v53, v1, v28
	v_mul_lo_u32 v1, v28, s7
	v_add_u32_e32 v54, v53, v1
	v_add_u32_e32 v55, v54, v1
	ds_read2_b64 v[10:13], v3 offset0:4 offset1:249
	ds_read2_b64 v[22:25], v2 offset0:10 offset1:255
	ds_read2_b64 v[2:5], v29 offset1:245
	ds_read_b64 v[30:31], v29 offset:11760
	v_and_b32_e32 v29, 31, v55
	v_lshl_add_u32 v29, v29, 3, 0
	ds_read_b64 v[38:39], v29 offset:13720
	v_lshrrev_b32_e32 v29, 2, v55
	s_add_i32 s1, 0, 0x3598
	v_and_b32_e32 v29, 0xf8, v29
	v_add_u32_e32 v29, s1, v29
	v_add_u32_e32 v42, v55, v1
	ds_read_b64 v[40:41], v29 offset:256
	v_and_b32_e32 v33, 31, v42
	v_lshrrev_b32_e32 v32, 7, v42
	v_lshl_add_u32 v34, v33, 3, 0
	v_lshrrev_b32_e32 v33, 2, v42
	v_and_b32_e32 v32, 0xf8, v32
	v_and_b32_e32 v33, 0xf8, v33
	v_add_u32_e32 v32, s1, v32
	v_add_u32_e32 v29, s1, v33
	ds_read_b64 v[32:33], v32 offset:512
	ds_read_b64 v[34:35], v34 offset:13720
	;; [unrolled: 1-line block ×3, first 2 shown]
	s_waitcnt lgkmcnt(3)
	v_mul_f32_e32 v29, v39, v41
	v_add_u32_e32 v58, v42, v1
	v_fma_f32 v56, v38, v40, -v29
	v_mul_f32_e32 v57, v38, v41
	v_lshrrev_b32_e32 v38, 2, v58
	v_and_b32_e32 v29, 31, v58
	v_and_b32_e32 v38, 0xf8, v38
	v_fmac_f32_e32 v57, v39, v40
	v_lshl_add_u32 v29, v29, 3, 0
	v_add_u32_e32 v40, s1, v38
	ds_read_b64 v[38:39], v29 offset:13720
	ds_read_b64 v[40:41], v40 offset:256
	v_add_u32_e32 v1, v58, v1
	v_lshrrev_b32_e32 v29, 7, v1
	v_and_b32_e32 v29, 0xf8, v29
	v_add_u32_e32 v29, s1, v29
	v_mul_lo_u32 v46, v52, v28
	ds_read_b64 v[42:43], v29 offset:512
	s_waitcnt lgkmcnt(1)
	v_mul_f32_e32 v29, v39, v41
	v_lshrrev_b32_e32 v28, 7, v46
	v_fma_f32 v59, v38, v40, -v29
	v_mul_f32_e32 v60, v38, v41
	v_and_b32_e32 v29, 31, v1
	v_lshrrev_b32_e32 v1, 2, v1
	v_and_b32_e32 v28, 0xf8, v28
	v_fmac_f32_e32 v60, v39, v40
	v_and_b32_e32 v1, 0xf8, v1
	v_add_u32_e32 v40, s1, v28
	v_and_b32_e32 v28, 31, v46
	v_lshl_add_u32 v29, v29, 3, 0
	v_add_u32_e32 v1, s1, v1
	v_lshl_add_u32 v44, v28, 3, 0
	ds_read_b64 v[28:29], v29 offset:13720
	ds_read_b64 v[38:39], v1 offset:256
	;; [unrolled: 1-line block ×4, first 2 shown]
	v_lshrrev_b32_e32 v1, 2, v46
	v_and_b32_e32 v1, 0xf8, v1
	v_add_u32_e32 v1, s1, v1
	ds_read_b64 v[46:47], v1 offset:256
	s_waitcnt lgkmcnt(3)
	v_mul_f32_e32 v1, v29, v39
	v_fma_f32 v61, v28, v38, -v1
	v_mul_f32_e32 v62, v28, v39
	v_fmac_f32_e32 v62, v29, v38
	s_waitcnt lgkmcnt(0)
	v_mul_f32_e32 v1, v45, v47
	v_mul_f32_e32 v64, v44, v47
	v_fma_f32 v63, v44, v46, -v1
	v_fmac_f32_e32 v64, v45, v46
	v_mov_b32_e32 v38, v5
	v_mov_b32_e32 v39, v24
	;; [unrolled: 1-line block ×4, first 2 shown]
	s_lshl_b64 s[2:3], s[2:3], 3
	s_add_u32 s2, s4, s2
	s_addc_u32 s3, s5, s3
	v_lshl_add_u64 v[26:27], v[26:27], 3, s[2:3]
	s_waitcnt vmcnt(2)
	v_mov_b32_e32 v48, v20
	s_waitcnt vmcnt(1)
	v_mov_b32_e32 v47, v15
	;; [unrolled: 2-line block ×3, first 2 shown]
	v_mov_b32_e32 v44, v6
	v_mov_b32_e32 v45, v14
	v_pk_mul_f32 v[38:39], v[46:47], v[38:39]
	v_mov_b32_e32 v49, v16
	v_pk_fma_f32 v[46:47], v[44:45], v[28:29], v[38:39]
	v_pk_fma_f32 v[28:29], v[44:45], v[28:29], v[38:39] neg_lo:[0,0,1] neg_hi:[0,0,1]
	v_mov_b32_e32 v38, v31
	v_mov_b32_e32 v39, v10
	;; [unrolled: 1-line block ×4, first 2 shown]
	v_pk_mul_f32 v[38:39], v[44:45], v[38:39]
	v_mov_b32_e32 v44, v30
	v_mov_b32_e32 v45, v11
	v_mul_f32_e32 v1, v9, v23
	v_pk_fma_f32 v[50:51], v[48:49], v[44:45], v[38:39]
	v_pk_fma_f32 v[38:39], v[48:49], v[44:45], v[38:39] neg_lo:[0,0,1] neg_hi:[0,0,1]
	v_fmac_f32_e32 v1, v8, v22
	v_mov_b32_e32 v45, v23
	v_mov_b32_e32 v23, v8
	;; [unrolled: 1-line block ×6, first 2 shown]
	v_pk_mul_f32 v[8:9], v[8:9], v[48:49]
	v_mov_b32_e32 v22, v14
	v_pk_fma_f32 v[24:25], v[14:15], v[24:25], v[8:9] op_sel_hi:[1,0,1]
	v_pk_fma_f32 v[8:9], v[22:23], v[44:45], v[8:9] neg_lo:[0,0,1] neg_hi:[0,0,1]
	v_mov_b32_e32 v15, v18
	v_mul_f32_e32 v8, v21, v30
	v_mul_f32_e32 v21, v19, v13
	v_fmac_f32_e32 v21, v18, v12
	v_lshrrev_b32_e32 v18, 7, v55
	v_and_b32_e32 v18, 0xf8, v18
	v_add_u32_e32 v18, s1, v18
	v_mov_b32_e32 v14, v17
	v_mov_b32_e32 v17, v19
	ds_read_b64 v[18:19], v18 offset:512
	v_fma_f32 v8, v20, v31, -v8
	v_mov_b32_e32 v47, v29
	v_mov_b32_e32 v51, v39
	;; [unrolled: 1-line block ×3, first 2 shown]
	s_waitcnt lgkmcnt(0)
	v_mul_f32_e32 v20, v57, v19
	v_fma_f32 v65, v18, v56, -v20
	v_mul_f32_e32 v56, v56, v19
	v_fmac_f32_e32 v56, v18, v57
	v_lshrrev_b32_e32 v18, 7, v58
	v_and_b32_e32 v18, 0xf8, v18
	v_add_u32_e32 v18, s1, v18
	ds_read_b64 v[18:19], v18 offset:512
	v_pk_add_f32 v[48:49], v[46:47], v[50:51]
	v_add_f32_e32 v44, v1, v21
	v_mov_b32_e32 v45, v49
	v_mov_b32_e32 v38, v39
	s_waitcnt lgkmcnt(0)
	v_mul_f32_e32 v20, v60, v19
	v_mul_f32_e32 v58, v59, v19
	v_fma_f32 v57, v18, v59, -v20
	v_fmac_f32_e32 v58, v18, v60
	v_mul_f32_e32 v18, v62, v43
	v_fma_f32 v59, v42, v61, -v18
	v_and_b32_e32 v18, 31, v53
	v_lshl_add_u32 v20, v18, 3, 0
	v_mul_f32_e32 v18, v64, v41
	v_mul_f32_e32 v60, v61, v43
	v_fma_f32 v61, v40, v63, -v18
	v_lshrrev_b32_e32 v18, 2, v53
	v_and_b32_e32 v18, 0xf8, v18
	v_add_u32_e32 v22, s1, v18
	v_mov_b32_e32 v18, v10
	v_mov_b32_e32 v19, v12
	v_pk_mul_f32 v[16:17], v[16:17], v[18:19]
	ds_read_b64 v[18:19], v20 offset:13720
	ds_read_b64 v[22:23], v22 offset:256
	v_lshrrev_b32_e32 v12, 7, v54
	v_and_b32_e32 v12, 0xf8, v12
	v_add_u32_e32 v12, s1, v12
	ds_read_b64 v[30:31], v12 offset:512
	s_waitcnt lgkmcnt(1)
	v_mul_f32_e32 v12, v18, v22
	v_fma_f32 v20, -v19, v23, v12
	v_lshrrev_b32_e32 v12, 7, v53
	v_and_b32_e32 v12, 0xf8, v12
	v_add_u32_e32 v12, s1, v12
	v_pk_mul_f32 v[18:19], v[18:19], v[22:23] op_sel:[1,0] op_sel_hi:[0,1]
	ds_read_b64 v[22:23], v12 offset:512
	v_add_f32_e32 v18, v18, v19
	v_and_b32_e32 v19, 31, v54
	v_fmac_f32_e32 v60, v42, v62
	v_mul_f32_e32 v62, v63, v41
	s_waitcnt lgkmcnt(0)
	v_mul_f32_e32 v12, v20, v23
	v_fmac_f32_e32 v12, v22, v18
	v_mul_f32_e32 v18, v18, v23
	v_fma_f32 v18, v22, v20, -v18
	v_lshrrev_b32_e32 v20, 2, v54
	v_lshl_add_u32 v19, v19, 3, 0
	v_and_b32_e32 v20, 0xf8, v20
	v_fmac_f32_e32 v62, v40, v64
	v_add_u32_e32 v20, s1, v20
	ds_read_b64 v[22:23], v19 offset:13720
	ds_read_b64 v[40:41], v20 offset:256
	s_mov_b32 s1, 0x10b7e6f
	v_mul_hi_u32 v0, v0, s1
	s_movk_i32 s1, 0x157
	s_waitcnt lgkmcnt(0)
	v_mul_f32_e32 v19, v22, v40
	v_fma_f32 v19, -v23, v41, v19
	v_pk_mul_f32 v[22:23], v[22:23], v[40:41] op_sel:[1,0] op_sel_hi:[0,1]
	v_add_f32_e32 v20, v22, v23
	v_mul_f32_e32 v22, v19, v31
	v_fmac_f32_e32 v22, v30, v20
	v_mul_f32_e32 v20, v20, v31
	v_fma_f32 v28, v30, v19, -v20
	v_mul_f32_e32 v19, v34, v36
	v_mad_u32_u24 v23, v0, s1, v52
	v_fma_f32 v19, -v35, v37, v19
	v_pk_mul_f32 v[30:31], v[34:35], v[36:37] op_sel:[1,0] op_sel_hi:[0,1]
	v_mad_u64_u32 v[34:35], s[16:17], s12, v23, 0
	v_mov_b32_e32 v0, v35
	v_mad_u64_u32 v[36:37], s[16:17], s13, v23, v[0:1]
	v_mov_b32_e32 v35, v36
	v_mov_b32_e32 v36, v11
	v_pk_fma_f32 v[10:11], v[14:15], v[10:11], v[16:17] op_sel:[0,1,0]
	v_mov_b32_e32 v37, v13
	v_add_u32_e32 v11, 49, v23
	v_pk_fma_f32 v[14:15], v[14:15], v[36:37], v[16:17] neg_lo:[0,0,1] neg_hi:[0,0,1]
	v_mad_u64_u32 v[16:17], s[16:17], s12, v11, 0
	v_mov_b32_e32 v0, v17
	v_mad_u64_u32 v[36:37], s[16:17], s13, v11, v[0:1]
	v_add_u32_e32 v11, 0x62, v23
	v_mov_b32_e32 v17, v36
	v_mad_u64_u32 v[36:37], s[16:17], s12, v11, 0
	v_mov_b32_e32 v0, v37
	v_mad_u64_u32 v[40:41], s[16:17], s13, v11, v[0:1]
	v_mul_f32_e32 v0, v7, v4
	v_fma_f32 v4, v6, v5, -v0
	v_add_u32_e32 v5, 0x93, v23
	v_mad_u64_u32 v[6:7], s[16:17], s12, v5, 0
	v_mov_b32_e32 v0, v7
	v_mov_b32_e32 v11, v15
	;; [unrolled: 1-line block ×3, first 2 shown]
	v_mad_u64_u32 v[40:41], s[16:17], s13, v5, v[0:1]
	v_pk_add_f32 v[42:43], v[24:25], v[10:11]
	v_add_f32_e32 v20, v30, v31
	v_mul_f32_e32 v30, v19, v33
	v_mov_b32_e32 v7, v40
	v_add_f32_e32 v41, v4, v8
	v_mov_b32_e32 v40, v42
	v_fmac_f32_e32 v30, v32, v20
	v_mul_f32_e32 v20, v20, v33
	v_pk_add_f32 v[52:53], v[40:41], v[44:45] neg_lo:[0,1] neg_hi:[0,1]
	v_mov_b32_e32 v45, v43
	v_mov_b32_e32 v40, v48
	v_fma_f32 v32, v32, v19, -v20
	v_pk_add_f32 v[54:55], v[48:49], v[42:43] neg_lo:[0,1] neg_hi:[0,1]
	v_mov_b32_e32 v43, v49
	v_pk_add_f32 v[48:49], v[44:45], v[40:41]
	v_mov_b32_e32 v39, v10
	v_mov_b32_e32 v10, v29
	;; [unrolled: 1-line block ×5, first 2 shown]
	v_pk_add_f32 v[42:43], v[42:43], v[48:49]
	v_pk_add_f32 v[10:11], v[38:39], v[10:11] neg_lo:[0,1] neg_hi:[0,1]
	v_pk_add_f32 v[0:1], v[0:1], v[20:21] neg_lo:[0,1] neg_hi:[0,1]
	v_mov_b32_e32 v5, v46
	v_mov_b32_e32 v9, v50
	v_pk_add_f32 v[2:3], v[42:43], v[2:3]
	s_mov_b32 s16, 0xbf955555
	v_pk_add_f32 v[20:21], v[10:11], v[0:1]
	v_pk_add_f32 v[4:5], v[4:5], v[8:9] neg_lo:[0,1] neg_hi:[0,1]
	v_pk_fma_f32 v[38:39], v[42:43], s[16:17], v[2:3] op_sel_hi:[1,0,1]
	v_pk_add_f32 v[8:9], v[20:21], v[4:5]
	v_mov_b32_e32 v20, v10
	v_mov_b32_e32 v21, v5
	;; [unrolled: 1-line block ×4, first 2 shown]
	v_pk_add_f32 v[20:21], v[20:21], v[42:43] neg_lo:[0,1] neg_hi:[0,1]
	v_mov_b32_e32 v42, v4
	v_mov_b32_e32 v11, v1
	v_pk_mul_f32 v[24:25], v[52:53], s[20:21]
	v_pk_mul_f32 v[20:21], v[20:21], s[18:19]
	v_pk_add_f32 v[10:11], v[42:43], v[10:11] neg_lo:[0,1] neg_hi:[0,1]
	v_pk_fma_f32 v[14:15], v[54:55], s[10:11], v[24:25]
	v_pk_fma_f32 v[42:43], v[10:11], s[14:15], v[20:21]
	v_pk_add_f32 v[14:15], v[14:15], v[38:39]
	v_pk_fma_f32 v[42:43], v[8:9], s[0:1], v[42:43] op_sel_hi:[1,0,1]
	v_add_u32_e32 v29, 0xc4, v23
	v_pk_add_f32 v[46:47], v[14:15], v[42:43] neg_lo:[0,1] neg_hi:[0,1]
	v_pk_add_f32 v[14:15], v[14:15], v[42:43]
	v_mov_b32_e32 v43, v46
	v_mov_b32_e32 v42, v15
	v_pk_mul_f32 v[12:13], v[42:43], v[12:13] op_sel_hi:[1,0]
	v_mov_b32_e32 v42, v46
	v_mov_b32_e32 v43, v15
	v_pk_fma_f32 v[42:43], v[42:43], v[18:19], v[12:13] op_sel_hi:[1,0,1] neg_lo:[0,0,1] neg_hi:[0,0,1]
	v_pk_fma_f32 v[12:13], v[46:47], v[18:19], v[12:13]
	v_mul_f32_e32 v18, v47, v60
	v_mul_f32_e32 v13, v14, v60
	v_fma_f32 v19, v47, v59, -v13
	v_mad_u64_u32 v[46:47], s[16:17], s12, v29, 0
	v_mov_b32_e32 v42, v47
	v_mad_u64_u32 v[48:49], s[16:17], s13, v29, v[42:43]
	v_add_u32_e32 v13, 0xf5, v23
	v_mov_b32_e32 v47, v48
	v_mad_u64_u32 v[48:49], s[16:17], s12, v13, 0
	v_mov_b32_e32 v42, v49
	v_mad_u64_u32 v[50:51], s[16:17], s13, v13, v[42:43]
	v_add_u32_e32 v13, 0x126, v23
	v_mov_b32_e32 v49, v50
	v_mad_u64_u32 v[50:51], s[16:17], s12, v13, 0
	v_mov_b32_e32 v42, v51
	v_mad_u64_u32 v[52:53], s[12:13], s13, v13, v[42:43]
	v_mov_b32_e32 v51, v52
	v_fmac_f32_e32 v18, v14, v59
	v_mul_f32_e32 v13, v2, v62
	v_mul_f32_e32 v14, v3, v62
	v_lshl_add_u64 v[34:35], v[34:35], 3, v[26:27]
	v_lshl_add_u64 v[16:17], v[16:17], 3, v[26:27]
	;; [unrolled: 1-line block ×7, first 2 shown]
	v_pk_mul_f32 v[50:51], v[54:55], s[10:11]
	v_pk_mul_f32 v[10:11], v[10:11], s[14:15]
	v_fma_f32 v15, v3, v61, -v13
	v_fmac_f32_e32 v14, v2, v61
	global_store_dwordx2 v[34:35], v[14:15], off
	global_store_dwordx2 v[16:17], v[18:19], off
	v_mov_b32_e32 v2, v50
	v_mov_b32_e32 v3, v25
	v_pk_add_f32 v[14:15], v[44:45], v[40:41] neg_lo:[0,1] neg_hi:[0,1]
	v_pk_add_f32 v[0:1], v[0:1], v[4:5] neg_lo:[0,1] neg_hi:[0,1]
	v_mov_b32_e32 v4, v10
	v_mov_b32_e32 v5, v21
	v_pk_fma_f32 v[2:3], v[14:15], s[6:7], v[2:3] op_sel_hi:[1,0,1] neg_lo:[1,0,1] neg_hi:[1,0,1]
	v_pk_fma_f32 v[4:5], v[0:1], s[8:9], v[4:5] op_sel_hi:[1,0,1] neg_lo:[1,0,1] neg_hi:[1,0,1]
	v_pk_add_f32 v[2:3], v[2:3], v[38:39]
	v_pk_fma_f32 v[4:5], v[8:9], s[0:1], v[4:5] op_sel_hi:[1,0,1]
	v_mov_b32_e32 v21, v11
	v_pk_add_f32 v[16:17], v[2:3], v[4:5] neg_lo:[0,1] neg_hi:[0,1]
	v_pk_add_f32 v[2:3], v[2:3], v[4:5]
	v_mov_b32_e32 v19, v16
	v_mov_b32_e32 v18, v3
	;; [unrolled: 1-line block ×4, first 2 shown]
	v_pk_mul_f32 v[18:19], v[18:19], v[22:23] op_sel_hi:[1,0]
	v_mul_f32_e32 v3, v2, v58
	v_pk_fma_f32 v[22:23], v[16:17], v[28:29], v[18:19]
	v_pk_fma_f32 v[4:5], v[4:5], v[28:29], v[18:19] op_sel_hi:[1,0,1] neg_lo:[0,0,1] neg_hi:[0,0,1]
	v_mul_f32_e32 v18, v17, v58
	v_mov_b32_e32 v25, v51
	v_fma_f32 v19, v17, v57, -v3
	v_fmac_f32_e32 v18, v2, v57
	v_pk_fma_f32 v[0:1], v[0:1], s[8:9], v[20:21] op_sel_hi:[1,0,1] neg_lo:[0,0,1] neg_hi:[0,0,1]
	v_pk_fma_f32 v[2:3], v[14:15], s[6:7], v[24:25] op_sel_hi:[1,0,1] neg_lo:[0,0,1] neg_hi:[0,0,1]
	v_pk_fma_f32 v[0:1], v[8:9], s[0:1], v[0:1] op_sel_hi:[1,0,1]
	v_pk_add_f32 v[2:3], v[2:3], v[38:39]
	v_mov_b32_e32 v23, v5
	v_pk_add_f32 v[8:9], v[2:3], v[0:1] neg_lo:[0,1] neg_hi:[0,1]
	v_pk_add_f32 v[0:1], v[0:1], v[2:3]
	v_mov_b32_e32 v11, v8
	v_mul_f32_e32 v2, v0, v56
	v_fma_f32 v3, v9, v65, -v2
	v_mul_f32_e32 v2, v9, v56
	v_mov_b32_e32 v10, v1
	v_fmac_f32_e32 v2, v0, v65
	v_mov_b32_e32 v0, v8
	v_pk_mul_f32 v[10:11], v[10:11], v[30:31] op_sel_hi:[1,0]
	v_mov_b32_e32 v13, v43
	v_pk_fma_f32 v[8:9], v[8:9], v[32:33], v[10:11]
	v_pk_fma_f32 v[0:1], v[0:1], v[32:33], v[10:11] op_sel_hi:[1,0,1] neg_lo:[0,0,1] neg_hi:[0,0,1]
	global_store_dwordx2 v[36:37], v[18:19], off
	v_mov_b32_e32 v9, v1
	global_store_dwordx2 v[6:7], v[8:9], off
	global_store_dwordx2 v[46:47], v[2:3], off
	;; [unrolled: 1-line block ×4, first 2 shown]
.LBB0_30:
	s_endpgm
	.section	.rodata,"a",@progbits
	.p2align	6, 0x0
	.amdhsa_kernel fft_rtc_back_len343_factors_7_7_7_wgs_245_tpt_49_sp_ip_CI_sbcc_twdbase5_3step_dirReg_intrinsicRead
		.amdhsa_group_segment_fixed_size 0
		.amdhsa_private_segment_fixed_size 0
		.amdhsa_kernarg_size 96
		.amdhsa_user_sgpr_count 2
		.amdhsa_user_sgpr_dispatch_ptr 0
		.amdhsa_user_sgpr_queue_ptr 0
		.amdhsa_user_sgpr_kernarg_segment_ptr 1
		.amdhsa_user_sgpr_dispatch_id 0
		.amdhsa_user_sgpr_kernarg_preload_length 0
		.amdhsa_user_sgpr_kernarg_preload_offset 0
		.amdhsa_user_sgpr_private_segment_size 0
		.amdhsa_uses_dynamic_stack 0
		.amdhsa_enable_private_segment 0
		.amdhsa_system_sgpr_workgroup_id_x 1
		.amdhsa_system_sgpr_workgroup_id_y 0
		.amdhsa_system_sgpr_workgroup_id_z 0
		.amdhsa_system_sgpr_workgroup_info 0
		.amdhsa_system_vgpr_workitem_id 0
		.amdhsa_next_free_vgpr 66
		.amdhsa_next_free_sgpr 43
		.amdhsa_accum_offset 68
		.amdhsa_reserve_vcc 1
		.amdhsa_float_round_mode_32 0
		.amdhsa_float_round_mode_16_64 0
		.amdhsa_float_denorm_mode_32 3
		.amdhsa_float_denorm_mode_16_64 3
		.amdhsa_dx10_clamp 1
		.amdhsa_ieee_mode 1
		.amdhsa_fp16_overflow 0
		.amdhsa_tg_split 0
		.amdhsa_exception_fp_ieee_invalid_op 0
		.amdhsa_exception_fp_denorm_src 0
		.amdhsa_exception_fp_ieee_div_zero 0
		.amdhsa_exception_fp_ieee_overflow 0
		.amdhsa_exception_fp_ieee_underflow 0
		.amdhsa_exception_fp_ieee_inexact 0
		.amdhsa_exception_int_div_zero 0
	.end_amdhsa_kernel
	.text
.Lfunc_end0:
	.size	fft_rtc_back_len343_factors_7_7_7_wgs_245_tpt_49_sp_ip_CI_sbcc_twdbase5_3step_dirReg_intrinsicRead, .Lfunc_end0-fft_rtc_back_len343_factors_7_7_7_wgs_245_tpt_49_sp_ip_CI_sbcc_twdbase5_3step_dirReg_intrinsicRead
                                        ; -- End function
	.section	.AMDGPU.csdata,"",@progbits
; Kernel info:
; codeLenInByte = 5848
; NumSgprs: 49
; NumVgprs: 66
; NumAgprs: 0
; TotalNumVgprs: 66
; ScratchSize: 0
; MemoryBound: 0
; FloatMode: 240
; IeeeMode: 1
; LDSByteSize: 0 bytes/workgroup (compile time only)
; SGPRBlocks: 6
; VGPRBlocks: 8
; NumSGPRsForWavesPerEU: 49
; NumVGPRsForWavesPerEU: 66
; AccumOffset: 68
; Occupancy: 7
; WaveLimiterHint : 1
; COMPUTE_PGM_RSRC2:SCRATCH_EN: 0
; COMPUTE_PGM_RSRC2:USER_SGPR: 2
; COMPUTE_PGM_RSRC2:TRAP_HANDLER: 0
; COMPUTE_PGM_RSRC2:TGID_X_EN: 1
; COMPUTE_PGM_RSRC2:TGID_Y_EN: 0
; COMPUTE_PGM_RSRC2:TGID_Z_EN: 0
; COMPUTE_PGM_RSRC2:TIDIG_COMP_CNT: 0
; COMPUTE_PGM_RSRC3_GFX90A:ACCUM_OFFSET: 16
; COMPUTE_PGM_RSRC3_GFX90A:TG_SPLIT: 0
	.text
	.p2alignl 6, 3212836864
	.fill 256, 4, 3212836864
	.type	__hip_cuid_f254868a3a0d06d4,@object ; @__hip_cuid_f254868a3a0d06d4
	.section	.bss,"aw",@nobits
	.globl	__hip_cuid_f254868a3a0d06d4
__hip_cuid_f254868a3a0d06d4:
	.byte	0                               ; 0x0
	.size	__hip_cuid_f254868a3a0d06d4, 1

	.ident	"AMD clang version 19.0.0git (https://github.com/RadeonOpenCompute/llvm-project roc-6.4.0 25133 c7fe45cf4b819c5991fe208aaa96edf142730f1d)"
	.section	".note.GNU-stack","",@progbits
	.addrsig
	.addrsig_sym __hip_cuid_f254868a3a0d06d4
	.amdgpu_metadata
---
amdhsa.kernels:
  - .agpr_count:     0
    .args:
      - .actual_access:  read_only
        .address_space:  global
        .offset:         0
        .size:           8
        .value_kind:     global_buffer
      - .address_space:  global
        .offset:         8
        .size:           8
        .value_kind:     global_buffer
      - .offset:         16
        .size:           8
        .value_kind:     by_value
      - .actual_access:  read_only
        .address_space:  global
        .offset:         24
        .size:           8
        .value_kind:     global_buffer
      - .actual_access:  read_only
        .address_space:  global
        .offset:         32
        .size:           8
        .value_kind:     global_buffer
      - .offset:         40
        .size:           8
        .value_kind:     by_value
      - .actual_access:  read_only
        .address_space:  global
        .offset:         48
        .size:           8
        .value_kind:     global_buffer
      - .actual_access:  read_only
        .address_space:  global
        .offset:         56
        .size:           8
        .value_kind:     global_buffer
      - .offset:         64
        .size:           4
        .value_kind:     by_value
      - .actual_access:  read_only
        .address_space:  global
        .offset:         72
        .size:           8
        .value_kind:     global_buffer
      - .actual_access:  read_only
        .address_space:  global
        .offset:         80
        .size:           8
        .value_kind:     global_buffer
      - .address_space:  global
        .offset:         88
        .size:           8
        .value_kind:     global_buffer
    .group_segment_fixed_size: 0
    .kernarg_segment_align: 8
    .kernarg_segment_size: 96
    .language:       OpenCL C
    .language_version:
      - 2
      - 0
    .max_flat_workgroup_size: 245
    .name:           fft_rtc_back_len343_factors_7_7_7_wgs_245_tpt_49_sp_ip_CI_sbcc_twdbase5_3step_dirReg_intrinsicRead
    .private_segment_fixed_size: 0
    .sgpr_count:     49
    .sgpr_spill_count: 0
    .symbol:         fft_rtc_back_len343_factors_7_7_7_wgs_245_tpt_49_sp_ip_CI_sbcc_twdbase5_3step_dirReg_intrinsicRead.kd
    .uniform_work_group_size: 1
    .uses_dynamic_stack: false
    .vgpr_count:     66
    .vgpr_spill_count: 0
    .wavefront_size: 64
amdhsa.target:   amdgcn-amd-amdhsa--gfx950
amdhsa.version:
  - 1
  - 2
...

	.end_amdgpu_metadata
